;; amdgpu-corpus repo=zjin-lcf/HeCBench kind=compiled arch=gfx906 opt=O3
	.amdgcn_target "amdgcn-amd-amdhsa--gfx906"
	.amdhsa_code_object_version 6
	.section	.text._Z11flip_kernelIfEvPKT_PS0_lPKllS5_S5_S5_l,"axG",@progbits,_Z11flip_kernelIfEvPKT_PS0_lPKllS5_S5_S5_l,comdat
	.protected	_Z11flip_kernelIfEvPKT_PS0_lPKllS5_S5_S5_l ; -- Begin function _Z11flip_kernelIfEvPKT_PS0_lPKllS5_S5_S5_l
	.globl	_Z11flip_kernelIfEvPKT_PS0_lPKllS5_S5_S5_l
	.p2align	8
	.type	_Z11flip_kernelIfEvPKT_PS0_lPKllS5_S5_S5_l,@function
_Z11flip_kernelIfEvPKT_PS0_lPKllS5_S5_S5_l: ; @_Z11flip_kernelIfEvPKT_PS0_lPKllS5_S5_S5_l
; %bb.0:
	s_load_dword s0, s[4:5], 0x54
	s_load_dwordx16 s[8:23], s[4:5], 0x0
	v_mov_b32_e32 v1, 0
	s_waitcnt lgkmcnt(0)
	s_and_b32 s0, s0, 0xffff
	s_mul_i32 s6, s6, s0
	v_add_u32_e32 v0, s6, v0
	v_cmp_gt_i64_e32 vcc, s[12:13], v[0:1]
	s_and_saveexec_b64 s[0:1], vcc
	s_cbranch_execz .LBB0_15
; %bb.1:
	s_load_dwordx2 s[2:3], s[4:5], 0x40
	s_waitcnt lgkmcnt(0)
	v_cmp_lt_i64_e64 s[0:1], s[2:3], 1
	s_and_b64 vcc, exec, s[0:1]
	s_cbranch_vccnz .LBB0_13
; %bb.2:
	v_cmp_gt_i64_e64 s[6:7], s[16:17], 0
	v_mov_b32_e32 v2, 0
	v_mov_b32_e32 v7, v1
	s_mov_b64 s[4:5], 0
	v_mov_b32_e32 v3, 0
	v_mov_b32_e32 v4, 0
	;; [unrolled: 1-line block ×3, first 2 shown]
	s_branch .LBB0_4
.LBB0_3:                                ;   in Loop: Header=BB0_4 Depth=1
	v_mul_lo_u32 v5, v9, s24
	v_mul_lo_u32 v12, v8, s25
	v_mad_u64_u32 v[8:9], s[0:1], v8, s24, 0
	s_add_u32 s0, s18, s12
	s_addc_u32 s1, s19, s13
	s_load_dwordx2 s[0:1], s[0:1], 0x0
	v_add3_u32 v5, v9, v12, v5
	v_sub_co_u32_e32 v6, vcc, v6, v8
	v_subb_co_u32_e32 v7, vcc, v7, v5, vcc
	s_waitcnt lgkmcnt(0)
	v_mul_lo_u32 v5, s0, v11
	v_mul_lo_u32 v8, s1, v10
	v_mad_u64_u32 v[2:3], s[0:1], s0, v10, v[2:3]
	s_add_u32 s4, s4, 1
	s_addc_u32 s5, s5, 0
	s_cmp_eq_u64 s[4:5], s[2:3]
	v_add3_u32 v3, v8, v3, v5
	s_cbranch_scc1 .LBB0_14
.LBB0_4:                                ; =>This Loop Header: Depth=1
                                        ;     Child Loop BB0_11 Depth 2
	s_lshl_b64 s[12:13], s[4:5], 3
	s_add_u32 s0, s20, s12
	s_addc_u32 s1, s21, s13
	s_load_dwordx2 s[24:25], s[0:1], 0x0
                                        ; implicit-def: $vgpr8_vgpr9
	s_waitcnt lgkmcnt(0)
	v_or_b32_e32 v5, s25, v7
	v_cmp_ne_u64_e32 vcc, 0, v[4:5]
	s_and_saveexec_b64 s[0:1], vcc
	s_xor_b64 s[26:27], exec, s[0:1]
	s_cbranch_execz .LBB0_6
; %bb.5:                                ;   in Loop: Header=BB0_4 Depth=1
	s_ashr_i32 s28, s25, 31
	s_add_u32 s0, s24, s28
	s_mov_b32 s29, s28
	s_addc_u32 s1, s25, s28
	s_xor_b64 s[30:31], s[0:1], s[28:29]
	v_cvt_f32_u32_e32 v5, s30
	v_cvt_f32_u32_e32 v8, s31
	s_sub_u32 s29, 0, s30
	s_subb_u32 s33, 0, s31
	v_mac_f32_e32 v5, 0x4f800000, v8
	v_rcp_f32_e32 v5, v5
	v_mul_f32_e32 v5, 0x5f7ffffc, v5
	v_mul_f32_e32 v8, 0x2f800000, v5
	v_trunc_f32_e32 v8, v8
	v_mac_f32_e32 v5, 0xcf800000, v8
	v_cvt_u32_f32_e32 v8, v8
	v_cvt_u32_f32_e32 v5, v5
	v_readfirstlane_b32 s34, v8
	v_readfirstlane_b32 s0, v5
	s_mul_i32 s1, s29, s34
	s_mul_hi_u32 s36, s29, s0
	s_mul_i32 s35, s33, s0
	s_add_i32 s1, s36, s1
	s_add_i32 s1, s1, s35
	s_mul_i32 s37, s29, s0
	s_mul_i32 s36, s0, s1
	s_mul_hi_u32 s38, s0, s37
	s_mul_hi_u32 s35, s0, s1
	s_add_u32 s36, s38, s36
	s_addc_u32 s35, 0, s35
	s_mul_hi_u32 s39, s34, s37
	s_mul_i32 s37, s34, s37
	s_add_u32 s36, s36, s37
	s_mul_hi_u32 s38, s34, s1
	s_addc_u32 s35, s35, s39
	s_addc_u32 s36, s38, 0
	s_mul_i32 s1, s34, s1
	s_add_u32 s1, s35, s1
	s_addc_u32 s35, 0, s36
	s_add_u32 s36, s0, s1
	s_cselect_b64 s[0:1], -1, 0
	s_cmp_lg_u64 s[0:1], 0
	s_addc_u32 s34, s34, s35
	s_mul_i32 s0, s29, s34
	s_mul_hi_u32 s1, s29, s36
	s_add_i32 s0, s1, s0
	s_mul_i32 s33, s33, s36
	s_add_i32 s0, s0, s33
	s_mul_i32 s29, s29, s36
	s_mul_hi_u32 s33, s34, s29
	s_mul_i32 s35, s34, s29
	s_mul_i32 s38, s36, s0
	s_mul_hi_u32 s29, s36, s29
	s_mul_hi_u32 s37, s36, s0
	s_add_u32 s29, s29, s38
	s_addc_u32 s37, 0, s37
	s_add_u32 s29, s29, s35
	s_mul_hi_u32 s1, s34, s0
	s_addc_u32 s29, s37, s33
	s_addc_u32 s1, s1, 0
	s_mul_i32 s0, s34, s0
	s_add_u32 s0, s29, s0
	s_addc_u32 s29, 0, s1
	s_add_u32 s33, s36, s0
	s_cselect_b64 s[0:1], -1, 0
	v_ashrrev_i32_e32 v5, 31, v7
	s_cmp_lg_u64 s[0:1], 0
	v_add_co_u32_e32 v8, vcc, v6, v5
	s_addc_u32 s29, s34, s29
	v_xor_b32_e32 v12, v8, v5
	v_mad_u64_u32 v[8:9], s[0:1], v12, s29, 0
	v_mul_hi_u32 v11, v12, s33
	v_addc_co_u32_e32 v10, vcc, v7, v5, vcc
	v_xor_b32_e32 v13, v10, v5
	v_add_co_u32_e32 v14, vcc, v11, v8
	v_addc_co_u32_e32 v15, vcc, 0, v9, vcc
	v_mad_u64_u32 v[8:9], s[0:1], v13, s33, 0
	v_mad_u64_u32 v[10:11], s[0:1], v13, s29, 0
	v_add_co_u32_e32 v8, vcc, v14, v8
	v_addc_co_u32_e32 v8, vcc, v15, v9, vcc
	v_addc_co_u32_e32 v9, vcc, 0, v11, vcc
	v_add_co_u32_e32 v10, vcc, v8, v10
	v_addc_co_u32_e32 v11, vcc, 0, v9, vcc
	v_mul_lo_u32 v14, s31, v10
	v_mul_lo_u32 v15, s30, v11
	v_mad_u64_u32 v[8:9], s[0:1], s30, v10, 0
	v_xor_b32_e32 v5, s28, v5
	v_add3_u32 v9, v9, v15, v14
	v_sub_u32_e32 v14, v13, v9
	v_mov_b32_e32 v15, s31
	v_sub_co_u32_e32 v8, vcc, v12, v8
	v_subb_co_u32_e64 v12, s[0:1], v14, v15, vcc
	v_subrev_co_u32_e64 v14, s[0:1], s30, v8
	v_subbrev_co_u32_e64 v12, s[0:1], 0, v12, s[0:1]
	v_cmp_le_u32_e64 s[0:1], s31, v12
	v_cndmask_b32_e64 v15, 0, -1, s[0:1]
	v_cmp_le_u32_e64 s[0:1], s30, v14
	v_cndmask_b32_e64 v14, 0, -1, s[0:1]
	v_cmp_eq_u32_e64 s[0:1], s31, v12
	v_cndmask_b32_e64 v12, v15, v14, s[0:1]
	v_add_co_u32_e64 v14, s[0:1], 2, v10
	v_subb_co_u32_e32 v9, vcc, v13, v9, vcc
	v_addc_co_u32_e64 v15, s[0:1], 0, v11, s[0:1]
	v_cmp_le_u32_e32 vcc, s31, v9
	v_add_co_u32_e64 v16, s[0:1], 1, v10
	v_cndmask_b32_e64 v13, 0, -1, vcc
	v_cmp_le_u32_e32 vcc, s30, v8
	v_addc_co_u32_e64 v17, s[0:1], 0, v11, s[0:1]
	v_cndmask_b32_e64 v8, 0, -1, vcc
	v_cmp_eq_u32_e32 vcc, s31, v9
	v_cmp_ne_u32_e64 s[0:1], 0, v12
	v_cndmask_b32_e32 v8, v13, v8, vcc
	v_cndmask_b32_e64 v12, v17, v15, s[0:1]
	v_cmp_ne_u32_e32 vcc, 0, v8
	v_cndmask_b32_e64 v9, v16, v14, s[0:1]
	v_cndmask_b32_e32 v8, v11, v12, vcc
	v_cndmask_b32_e32 v9, v10, v9, vcc
	v_xor_b32_e32 v10, v8, v5
	v_xor_b32_e32 v8, v9, v5
	v_sub_co_u32_e32 v8, vcc, v8, v5
	v_subb_co_u32_e32 v9, vcc, v10, v5, vcc
.LBB0_6:                                ;   in Loop: Header=BB0_4 Depth=1
	s_andn2_saveexec_b64 s[0:1], s[26:27]
	s_cbranch_execz .LBB0_8
; %bb.7:                                ;   in Loop: Header=BB0_4 Depth=1
	v_cvt_f32_u32_e32 v5, s24
	s_sub_i32 s26, 0, s24
	v_rcp_iflag_f32_e32 v5, v5
	v_mul_f32_e32 v5, 0x4f7ffffe, v5
	v_cvt_u32_f32_e32 v5, v5
	v_mul_lo_u32 v8, s26, v5
	v_mul_hi_u32 v8, v5, v8
	v_add_u32_e32 v5, v5, v8
	v_mul_hi_u32 v5, v6, v5
	v_mul_lo_u32 v8, v5, s24
	v_add_u32_e32 v9, 1, v5
	v_sub_u32_e32 v8, v6, v8
	v_subrev_u32_e32 v10, s24, v8
	v_cmp_le_u32_e32 vcc, s24, v8
	v_cndmask_b32_e32 v8, v8, v10, vcc
	v_cndmask_b32_e32 v5, v5, v9, vcc
	v_add_u32_e32 v9, 1, v5
	v_cmp_le_u32_e32 vcc, s24, v8
	v_cndmask_b32_e32 v8, v5, v9, vcc
	v_mov_b32_e32 v9, v4
.LBB0_8:                                ;   in Loop: Header=BB0_4 Depth=1
	s_or_b64 exec, exec, s[0:1]
	v_mov_b32_e32 v11, v9
	s_andn2_b64 vcc, exec, s[6:7]
	v_mov_b32_e32 v10, v8
	s_cbranch_vccnz .LBB0_3
; %bb.9:                                ;   in Loop: Header=BB0_4 Depth=1
	s_add_u32 s0, s22, s12
	v_mov_b32_e32 v11, v9
	s_addc_u32 s1, s23, s13
	s_mov_b64 s[26:27], s[14:15]
	s_mov_b64 s[28:29], s[16:17]
	v_mov_b32_e32 v10, v8
	s_branch .LBB0_11
.LBB0_10:                               ;   in Loop: Header=BB0_11 Depth=2
	s_add_u32 s28, s28, -1
	s_addc_u32 s29, s29, -1
	s_add_u32 s26, s26, 8
	s_addc_u32 s27, s27, 0
	s_cmp_eq_u64 s[28:29], 0
	s_cbranch_scc1 .LBB0_3
.LBB0_11:                               ;   Parent Loop BB0_4 Depth=1
                                        ; =>  This Inner Loop Header: Depth=2
	s_load_dwordx2 s[30:31], s[26:27], 0x0
	s_waitcnt lgkmcnt(0)
	s_cmp_lg_u64 s[4:5], s[30:31]
	s_cbranch_scc1 .LBB0_10
; %bb.12:                               ;   in Loop: Header=BB0_11 Depth=2
	s_load_dwordx2 s[30:31], s[0:1], 0x0
	v_not_b32_e32 v10, v10
	v_not_b32_e32 v5, v11
	s_waitcnt lgkmcnt(0)
	v_mov_b32_e32 v11, s31
	v_add_co_u32_e32 v10, vcc, s30, v10
	v_addc_co_u32_e32 v11, vcc, v11, v5, vcc
	s_branch .LBB0_10
.LBB0_13:
	v_mov_b32_e32 v2, 0
	v_mov_b32_e32 v3, 0
.LBB0_14:
	v_lshlrev_b64 v[2:3], 2, v[2:3]
	v_mov_b32_e32 v4, s9
	v_add_co_u32_e32 v2, vcc, s8, v2
	v_addc_co_u32_e32 v3, vcc, v4, v3, vcc
	global_load_dword v2, v[2:3], off
	v_lshlrev_b64 v[0:1], 2, v[0:1]
	v_mov_b32_e32 v3, s11
	v_add_co_u32_e32 v0, vcc, s10, v0
	v_addc_co_u32_e32 v1, vcc, v3, v1, vcc
	s_waitcnt vmcnt(0)
	global_store_dword v[0:1], v2, off
.LBB0_15:
	s_endpgm
	.section	.rodata,"a",@progbits
	.p2align	6, 0x0
	.amdhsa_kernel _Z11flip_kernelIfEvPKT_PS0_lPKllS5_S5_S5_l
		.amdhsa_group_segment_fixed_size 0
		.amdhsa_private_segment_fixed_size 0
		.amdhsa_kernarg_size 328
		.amdhsa_user_sgpr_count 6
		.amdhsa_user_sgpr_private_segment_buffer 1
		.amdhsa_user_sgpr_dispatch_ptr 0
		.amdhsa_user_sgpr_queue_ptr 0
		.amdhsa_user_sgpr_kernarg_segment_ptr 1
		.amdhsa_user_sgpr_dispatch_id 0
		.amdhsa_user_sgpr_flat_scratch_init 0
		.amdhsa_user_sgpr_private_segment_size 0
		.amdhsa_uses_dynamic_stack 0
		.amdhsa_system_sgpr_private_segment_wavefront_offset 0
		.amdhsa_system_sgpr_workgroup_id_x 1
		.amdhsa_system_sgpr_workgroup_id_y 0
		.amdhsa_system_sgpr_workgroup_id_z 0
		.amdhsa_system_sgpr_workgroup_info 0
		.amdhsa_system_vgpr_workitem_id 0
		.amdhsa_next_free_vgpr 18
		.amdhsa_next_free_sgpr 40
		.amdhsa_reserve_vcc 1
		.amdhsa_reserve_flat_scratch 0
		.amdhsa_float_round_mode_32 0
		.amdhsa_float_round_mode_16_64 0
		.amdhsa_float_denorm_mode_32 3
		.amdhsa_float_denorm_mode_16_64 3
		.amdhsa_dx10_clamp 1
		.amdhsa_ieee_mode 1
		.amdhsa_fp16_overflow 0
		.amdhsa_exception_fp_ieee_invalid_op 0
		.amdhsa_exception_fp_denorm_src 0
		.amdhsa_exception_fp_ieee_div_zero 0
		.amdhsa_exception_fp_ieee_overflow 0
		.amdhsa_exception_fp_ieee_underflow 0
		.amdhsa_exception_fp_ieee_inexact 0
		.amdhsa_exception_int_div_zero 0
	.end_amdhsa_kernel
	.section	.text._Z11flip_kernelIfEvPKT_PS0_lPKllS5_S5_S5_l,"axG",@progbits,_Z11flip_kernelIfEvPKT_PS0_lPKllS5_S5_S5_l,comdat
.Lfunc_end0:
	.size	_Z11flip_kernelIfEvPKT_PS0_lPKllS5_S5_S5_l, .Lfunc_end0-_Z11flip_kernelIfEvPKT_PS0_lPKllS5_S5_S5_l
                                        ; -- End function
	.set _Z11flip_kernelIfEvPKT_PS0_lPKllS5_S5_S5_l.num_vgpr, 18
	.set _Z11flip_kernelIfEvPKT_PS0_lPKllS5_S5_S5_l.num_agpr, 0
	.set _Z11flip_kernelIfEvPKT_PS0_lPKllS5_S5_S5_l.numbered_sgpr, 40
	.set _Z11flip_kernelIfEvPKT_PS0_lPKllS5_S5_S5_l.num_named_barrier, 0
	.set _Z11flip_kernelIfEvPKT_PS0_lPKllS5_S5_S5_l.private_seg_size, 0
	.set _Z11flip_kernelIfEvPKT_PS0_lPKllS5_S5_S5_l.uses_vcc, 1
	.set _Z11flip_kernelIfEvPKT_PS0_lPKllS5_S5_S5_l.uses_flat_scratch, 0
	.set _Z11flip_kernelIfEvPKT_PS0_lPKllS5_S5_S5_l.has_dyn_sized_stack, 0
	.set _Z11flip_kernelIfEvPKT_PS0_lPKllS5_S5_S5_l.has_recursion, 0
	.set _Z11flip_kernelIfEvPKT_PS0_lPKllS5_S5_S5_l.has_indirect_call, 0
	.section	.AMDGPU.csdata,"",@progbits
; Kernel info:
; codeLenInByte = 1180
; TotalNumSgprs: 44
; NumVgprs: 18
; ScratchSize: 0
; MemoryBound: 0
; FloatMode: 240
; IeeeMode: 1
; LDSByteSize: 0 bytes/workgroup (compile time only)
; SGPRBlocks: 5
; VGPRBlocks: 4
; NumSGPRsForWavesPerEU: 44
; NumVGPRsForWavesPerEU: 18
; Occupancy: 10
; WaveLimiterHint : 0
; COMPUTE_PGM_RSRC2:SCRATCH_EN: 0
; COMPUTE_PGM_RSRC2:USER_SGPR: 6
; COMPUTE_PGM_RSRC2:TRAP_HANDLER: 0
; COMPUTE_PGM_RSRC2:TGID_X_EN: 1
; COMPUTE_PGM_RSRC2:TGID_Y_EN: 0
; COMPUTE_PGM_RSRC2:TGID_Z_EN: 0
; COMPUTE_PGM_RSRC2:TIDIG_COMP_CNT: 0
	.section	.text._Z11flip_kernelIdEvPKT_PS0_lPKllS5_S5_S5_l,"axG",@progbits,_Z11flip_kernelIdEvPKT_PS0_lPKllS5_S5_S5_l,comdat
	.protected	_Z11flip_kernelIdEvPKT_PS0_lPKllS5_S5_S5_l ; -- Begin function _Z11flip_kernelIdEvPKT_PS0_lPKllS5_S5_S5_l
	.globl	_Z11flip_kernelIdEvPKT_PS0_lPKllS5_S5_S5_l
	.p2align	8
	.type	_Z11flip_kernelIdEvPKT_PS0_lPKllS5_S5_S5_l,@function
_Z11flip_kernelIdEvPKT_PS0_lPKllS5_S5_S5_l: ; @_Z11flip_kernelIdEvPKT_PS0_lPKllS5_S5_S5_l
; %bb.0:
	s_load_dword s0, s[4:5], 0x54
	s_load_dwordx16 s[8:23], s[4:5], 0x0
	v_mov_b32_e32 v1, 0
	s_waitcnt lgkmcnt(0)
	s_and_b32 s0, s0, 0xffff
	s_mul_i32 s6, s6, s0
	v_add_u32_e32 v0, s6, v0
	v_cmp_gt_i64_e32 vcc, s[12:13], v[0:1]
	s_and_saveexec_b64 s[0:1], vcc
	s_cbranch_execz .LBB1_15
; %bb.1:
	s_load_dwordx2 s[2:3], s[4:5], 0x40
	s_waitcnt lgkmcnt(0)
	v_cmp_lt_i64_e64 s[0:1], s[2:3], 1
	s_and_b64 vcc, exec, s[0:1]
	s_cbranch_vccnz .LBB1_13
; %bb.2:
	v_cmp_gt_i64_e64 s[6:7], s[16:17], 0
	v_mov_b32_e32 v2, 0
	v_mov_b32_e32 v7, v1
	s_mov_b64 s[4:5], 0
	v_mov_b32_e32 v3, 0
	v_mov_b32_e32 v4, 0
	;; [unrolled: 1-line block ×3, first 2 shown]
	s_branch .LBB1_4
.LBB1_3:                                ;   in Loop: Header=BB1_4 Depth=1
	v_mul_lo_u32 v5, v9, s24
	v_mul_lo_u32 v12, v8, s25
	v_mad_u64_u32 v[8:9], s[0:1], v8, s24, 0
	s_add_u32 s0, s18, s12
	s_addc_u32 s1, s19, s13
	s_load_dwordx2 s[0:1], s[0:1], 0x0
	v_add3_u32 v5, v9, v12, v5
	v_sub_co_u32_e32 v6, vcc, v6, v8
	v_subb_co_u32_e32 v7, vcc, v7, v5, vcc
	s_waitcnt lgkmcnt(0)
	v_mul_lo_u32 v5, s0, v11
	v_mul_lo_u32 v8, s1, v10
	v_mad_u64_u32 v[2:3], s[0:1], s0, v10, v[2:3]
	s_add_u32 s4, s4, 1
	s_addc_u32 s5, s5, 0
	s_cmp_eq_u64 s[4:5], s[2:3]
	v_add3_u32 v3, v8, v3, v5
	s_cbranch_scc1 .LBB1_14
.LBB1_4:                                ; =>This Loop Header: Depth=1
                                        ;     Child Loop BB1_11 Depth 2
	s_lshl_b64 s[12:13], s[4:5], 3
	s_add_u32 s0, s20, s12
	s_addc_u32 s1, s21, s13
	s_load_dwordx2 s[24:25], s[0:1], 0x0
                                        ; implicit-def: $vgpr8_vgpr9
	s_waitcnt lgkmcnt(0)
	v_or_b32_e32 v5, s25, v7
	v_cmp_ne_u64_e32 vcc, 0, v[4:5]
	s_and_saveexec_b64 s[0:1], vcc
	s_xor_b64 s[26:27], exec, s[0:1]
	s_cbranch_execz .LBB1_6
; %bb.5:                                ;   in Loop: Header=BB1_4 Depth=1
	s_ashr_i32 s28, s25, 31
	s_add_u32 s0, s24, s28
	s_mov_b32 s29, s28
	s_addc_u32 s1, s25, s28
	s_xor_b64 s[30:31], s[0:1], s[28:29]
	v_cvt_f32_u32_e32 v5, s30
	v_cvt_f32_u32_e32 v8, s31
	s_sub_u32 s29, 0, s30
	s_subb_u32 s33, 0, s31
	v_mac_f32_e32 v5, 0x4f800000, v8
	v_rcp_f32_e32 v5, v5
	v_mul_f32_e32 v5, 0x5f7ffffc, v5
	v_mul_f32_e32 v8, 0x2f800000, v5
	v_trunc_f32_e32 v8, v8
	v_mac_f32_e32 v5, 0xcf800000, v8
	v_cvt_u32_f32_e32 v8, v8
	v_cvt_u32_f32_e32 v5, v5
	v_readfirstlane_b32 s34, v8
	v_readfirstlane_b32 s0, v5
	s_mul_i32 s1, s29, s34
	s_mul_hi_u32 s36, s29, s0
	s_mul_i32 s35, s33, s0
	s_add_i32 s1, s36, s1
	s_add_i32 s1, s1, s35
	s_mul_i32 s37, s29, s0
	s_mul_i32 s36, s0, s1
	s_mul_hi_u32 s38, s0, s37
	s_mul_hi_u32 s35, s0, s1
	s_add_u32 s36, s38, s36
	s_addc_u32 s35, 0, s35
	s_mul_hi_u32 s39, s34, s37
	s_mul_i32 s37, s34, s37
	s_add_u32 s36, s36, s37
	s_mul_hi_u32 s38, s34, s1
	s_addc_u32 s35, s35, s39
	s_addc_u32 s36, s38, 0
	s_mul_i32 s1, s34, s1
	s_add_u32 s1, s35, s1
	s_addc_u32 s35, 0, s36
	s_add_u32 s36, s0, s1
	s_cselect_b64 s[0:1], -1, 0
	s_cmp_lg_u64 s[0:1], 0
	s_addc_u32 s34, s34, s35
	s_mul_i32 s0, s29, s34
	s_mul_hi_u32 s1, s29, s36
	s_add_i32 s0, s1, s0
	s_mul_i32 s33, s33, s36
	s_add_i32 s0, s0, s33
	s_mul_i32 s29, s29, s36
	s_mul_hi_u32 s33, s34, s29
	s_mul_i32 s35, s34, s29
	s_mul_i32 s38, s36, s0
	s_mul_hi_u32 s29, s36, s29
	s_mul_hi_u32 s37, s36, s0
	s_add_u32 s29, s29, s38
	s_addc_u32 s37, 0, s37
	s_add_u32 s29, s29, s35
	s_mul_hi_u32 s1, s34, s0
	s_addc_u32 s29, s37, s33
	s_addc_u32 s1, s1, 0
	s_mul_i32 s0, s34, s0
	s_add_u32 s0, s29, s0
	s_addc_u32 s29, 0, s1
	s_add_u32 s33, s36, s0
	s_cselect_b64 s[0:1], -1, 0
	v_ashrrev_i32_e32 v5, 31, v7
	s_cmp_lg_u64 s[0:1], 0
	v_add_co_u32_e32 v8, vcc, v6, v5
	s_addc_u32 s29, s34, s29
	v_xor_b32_e32 v12, v8, v5
	v_mad_u64_u32 v[8:9], s[0:1], v12, s29, 0
	v_mul_hi_u32 v11, v12, s33
	v_addc_co_u32_e32 v10, vcc, v7, v5, vcc
	v_xor_b32_e32 v13, v10, v5
	v_add_co_u32_e32 v14, vcc, v11, v8
	v_addc_co_u32_e32 v15, vcc, 0, v9, vcc
	v_mad_u64_u32 v[8:9], s[0:1], v13, s33, 0
	v_mad_u64_u32 v[10:11], s[0:1], v13, s29, 0
	v_add_co_u32_e32 v8, vcc, v14, v8
	v_addc_co_u32_e32 v8, vcc, v15, v9, vcc
	v_addc_co_u32_e32 v9, vcc, 0, v11, vcc
	v_add_co_u32_e32 v10, vcc, v8, v10
	v_addc_co_u32_e32 v11, vcc, 0, v9, vcc
	v_mul_lo_u32 v14, s31, v10
	v_mul_lo_u32 v15, s30, v11
	v_mad_u64_u32 v[8:9], s[0:1], s30, v10, 0
	v_xor_b32_e32 v5, s28, v5
	v_add3_u32 v9, v9, v15, v14
	v_sub_u32_e32 v14, v13, v9
	v_mov_b32_e32 v15, s31
	v_sub_co_u32_e32 v8, vcc, v12, v8
	v_subb_co_u32_e64 v12, s[0:1], v14, v15, vcc
	v_subrev_co_u32_e64 v14, s[0:1], s30, v8
	v_subbrev_co_u32_e64 v12, s[0:1], 0, v12, s[0:1]
	v_cmp_le_u32_e64 s[0:1], s31, v12
	v_cndmask_b32_e64 v15, 0, -1, s[0:1]
	v_cmp_le_u32_e64 s[0:1], s30, v14
	v_cndmask_b32_e64 v14, 0, -1, s[0:1]
	v_cmp_eq_u32_e64 s[0:1], s31, v12
	v_cndmask_b32_e64 v12, v15, v14, s[0:1]
	v_add_co_u32_e64 v14, s[0:1], 2, v10
	v_subb_co_u32_e32 v9, vcc, v13, v9, vcc
	v_addc_co_u32_e64 v15, s[0:1], 0, v11, s[0:1]
	v_cmp_le_u32_e32 vcc, s31, v9
	v_add_co_u32_e64 v16, s[0:1], 1, v10
	v_cndmask_b32_e64 v13, 0, -1, vcc
	v_cmp_le_u32_e32 vcc, s30, v8
	v_addc_co_u32_e64 v17, s[0:1], 0, v11, s[0:1]
	v_cndmask_b32_e64 v8, 0, -1, vcc
	v_cmp_eq_u32_e32 vcc, s31, v9
	v_cmp_ne_u32_e64 s[0:1], 0, v12
	v_cndmask_b32_e32 v8, v13, v8, vcc
	v_cndmask_b32_e64 v12, v17, v15, s[0:1]
	v_cmp_ne_u32_e32 vcc, 0, v8
	v_cndmask_b32_e64 v9, v16, v14, s[0:1]
	v_cndmask_b32_e32 v8, v11, v12, vcc
	v_cndmask_b32_e32 v9, v10, v9, vcc
	v_xor_b32_e32 v10, v8, v5
	v_xor_b32_e32 v8, v9, v5
	v_sub_co_u32_e32 v8, vcc, v8, v5
	v_subb_co_u32_e32 v9, vcc, v10, v5, vcc
.LBB1_6:                                ;   in Loop: Header=BB1_4 Depth=1
	s_andn2_saveexec_b64 s[0:1], s[26:27]
	s_cbranch_execz .LBB1_8
; %bb.7:                                ;   in Loop: Header=BB1_4 Depth=1
	v_cvt_f32_u32_e32 v5, s24
	s_sub_i32 s26, 0, s24
	v_rcp_iflag_f32_e32 v5, v5
	v_mul_f32_e32 v5, 0x4f7ffffe, v5
	v_cvt_u32_f32_e32 v5, v5
	v_mul_lo_u32 v8, s26, v5
	v_mul_hi_u32 v8, v5, v8
	v_add_u32_e32 v5, v5, v8
	v_mul_hi_u32 v5, v6, v5
	v_mul_lo_u32 v8, v5, s24
	v_add_u32_e32 v9, 1, v5
	v_sub_u32_e32 v8, v6, v8
	v_subrev_u32_e32 v10, s24, v8
	v_cmp_le_u32_e32 vcc, s24, v8
	v_cndmask_b32_e32 v8, v8, v10, vcc
	v_cndmask_b32_e32 v5, v5, v9, vcc
	v_add_u32_e32 v9, 1, v5
	v_cmp_le_u32_e32 vcc, s24, v8
	v_cndmask_b32_e32 v8, v5, v9, vcc
	v_mov_b32_e32 v9, v4
.LBB1_8:                                ;   in Loop: Header=BB1_4 Depth=1
	s_or_b64 exec, exec, s[0:1]
	v_mov_b32_e32 v11, v9
	s_andn2_b64 vcc, exec, s[6:7]
	v_mov_b32_e32 v10, v8
	s_cbranch_vccnz .LBB1_3
; %bb.9:                                ;   in Loop: Header=BB1_4 Depth=1
	s_add_u32 s0, s22, s12
	v_mov_b32_e32 v11, v9
	s_addc_u32 s1, s23, s13
	s_mov_b64 s[26:27], s[14:15]
	s_mov_b64 s[28:29], s[16:17]
	v_mov_b32_e32 v10, v8
	s_branch .LBB1_11
.LBB1_10:                               ;   in Loop: Header=BB1_11 Depth=2
	s_add_u32 s28, s28, -1
	s_addc_u32 s29, s29, -1
	s_add_u32 s26, s26, 8
	s_addc_u32 s27, s27, 0
	s_cmp_eq_u64 s[28:29], 0
	s_cbranch_scc1 .LBB1_3
.LBB1_11:                               ;   Parent Loop BB1_4 Depth=1
                                        ; =>  This Inner Loop Header: Depth=2
	s_load_dwordx2 s[30:31], s[26:27], 0x0
	s_waitcnt lgkmcnt(0)
	s_cmp_lg_u64 s[4:5], s[30:31]
	s_cbranch_scc1 .LBB1_10
; %bb.12:                               ;   in Loop: Header=BB1_11 Depth=2
	s_load_dwordx2 s[30:31], s[0:1], 0x0
	v_not_b32_e32 v10, v10
	v_not_b32_e32 v5, v11
	s_waitcnt lgkmcnt(0)
	v_mov_b32_e32 v11, s31
	v_add_co_u32_e32 v10, vcc, s30, v10
	v_addc_co_u32_e32 v11, vcc, v11, v5, vcc
	s_branch .LBB1_10
.LBB1_13:
	v_mov_b32_e32 v2, 0
	v_mov_b32_e32 v3, 0
.LBB1_14:
	v_lshlrev_b64 v[2:3], 3, v[2:3]
	v_mov_b32_e32 v4, s9
	v_add_co_u32_e32 v2, vcc, s8, v2
	v_addc_co_u32_e32 v3, vcc, v4, v3, vcc
	global_load_dwordx2 v[2:3], v[2:3], off
	v_lshlrev_b64 v[0:1], 3, v[0:1]
	v_mov_b32_e32 v4, s11
	v_add_co_u32_e32 v0, vcc, s10, v0
	v_addc_co_u32_e32 v1, vcc, v4, v1, vcc
	s_waitcnt vmcnt(0)
	global_store_dwordx2 v[0:1], v[2:3], off
.LBB1_15:
	s_endpgm
	.section	.rodata,"a",@progbits
	.p2align	6, 0x0
	.amdhsa_kernel _Z11flip_kernelIdEvPKT_PS0_lPKllS5_S5_S5_l
		.amdhsa_group_segment_fixed_size 0
		.amdhsa_private_segment_fixed_size 0
		.amdhsa_kernarg_size 328
		.amdhsa_user_sgpr_count 6
		.amdhsa_user_sgpr_private_segment_buffer 1
		.amdhsa_user_sgpr_dispatch_ptr 0
		.amdhsa_user_sgpr_queue_ptr 0
		.amdhsa_user_sgpr_kernarg_segment_ptr 1
		.amdhsa_user_sgpr_dispatch_id 0
		.amdhsa_user_sgpr_flat_scratch_init 0
		.amdhsa_user_sgpr_private_segment_size 0
		.amdhsa_uses_dynamic_stack 0
		.amdhsa_system_sgpr_private_segment_wavefront_offset 0
		.amdhsa_system_sgpr_workgroup_id_x 1
		.amdhsa_system_sgpr_workgroup_id_y 0
		.amdhsa_system_sgpr_workgroup_id_z 0
		.amdhsa_system_sgpr_workgroup_info 0
		.amdhsa_system_vgpr_workitem_id 0
		.amdhsa_next_free_vgpr 18
		.amdhsa_next_free_sgpr 40
		.amdhsa_reserve_vcc 1
		.amdhsa_reserve_flat_scratch 0
		.amdhsa_float_round_mode_32 0
		.amdhsa_float_round_mode_16_64 0
		.amdhsa_float_denorm_mode_32 3
		.amdhsa_float_denorm_mode_16_64 3
		.amdhsa_dx10_clamp 1
		.amdhsa_ieee_mode 1
		.amdhsa_fp16_overflow 0
		.amdhsa_exception_fp_ieee_invalid_op 0
		.amdhsa_exception_fp_denorm_src 0
		.amdhsa_exception_fp_ieee_div_zero 0
		.amdhsa_exception_fp_ieee_overflow 0
		.amdhsa_exception_fp_ieee_underflow 0
		.amdhsa_exception_fp_ieee_inexact 0
		.amdhsa_exception_int_div_zero 0
	.end_amdhsa_kernel
	.section	.text._Z11flip_kernelIdEvPKT_PS0_lPKllS5_S5_S5_l,"axG",@progbits,_Z11flip_kernelIdEvPKT_PS0_lPKllS5_S5_S5_l,comdat
.Lfunc_end1:
	.size	_Z11flip_kernelIdEvPKT_PS0_lPKllS5_S5_S5_l, .Lfunc_end1-_Z11flip_kernelIdEvPKT_PS0_lPKllS5_S5_S5_l
                                        ; -- End function
	.set _Z11flip_kernelIdEvPKT_PS0_lPKllS5_S5_S5_l.num_vgpr, 18
	.set _Z11flip_kernelIdEvPKT_PS0_lPKllS5_S5_S5_l.num_agpr, 0
	.set _Z11flip_kernelIdEvPKT_PS0_lPKllS5_S5_S5_l.numbered_sgpr, 40
	.set _Z11flip_kernelIdEvPKT_PS0_lPKllS5_S5_S5_l.num_named_barrier, 0
	.set _Z11flip_kernelIdEvPKT_PS0_lPKllS5_S5_S5_l.private_seg_size, 0
	.set _Z11flip_kernelIdEvPKT_PS0_lPKllS5_S5_S5_l.uses_vcc, 1
	.set _Z11flip_kernelIdEvPKT_PS0_lPKllS5_S5_S5_l.uses_flat_scratch, 0
	.set _Z11flip_kernelIdEvPKT_PS0_lPKllS5_S5_S5_l.has_dyn_sized_stack, 0
	.set _Z11flip_kernelIdEvPKT_PS0_lPKllS5_S5_S5_l.has_recursion, 0
	.set _Z11flip_kernelIdEvPKT_PS0_lPKllS5_S5_S5_l.has_indirect_call, 0
	.section	.AMDGPU.csdata,"",@progbits
; Kernel info:
; codeLenInByte = 1180
; TotalNumSgprs: 44
; NumVgprs: 18
; ScratchSize: 0
; MemoryBound: 0
; FloatMode: 240
; IeeeMode: 1
; LDSByteSize: 0 bytes/workgroup (compile time only)
; SGPRBlocks: 5
; VGPRBlocks: 4
; NumSGPRsForWavesPerEU: 44
; NumVGPRsForWavesPerEU: 18
; Occupancy: 10
; WaveLimiterHint : 0
; COMPUTE_PGM_RSRC2:SCRATCH_EN: 0
; COMPUTE_PGM_RSRC2:USER_SGPR: 6
; COMPUTE_PGM_RSRC2:TRAP_HANDLER: 0
; COMPUTE_PGM_RSRC2:TGID_X_EN: 1
; COMPUTE_PGM_RSRC2:TGID_Y_EN: 0
; COMPUTE_PGM_RSRC2:TGID_Z_EN: 0
; COMPUTE_PGM_RSRC2:TIDIG_COMP_CNT: 0
	.section	.AMDGPU.gpr_maximums,"",@progbits
	.set amdgpu.max_num_vgpr, 0
	.set amdgpu.max_num_agpr, 0
	.set amdgpu.max_num_sgpr, 0
	.section	.AMDGPU.csdata,"",@progbits
	.type	__hip_cuid_233a34815e8141e0,@object ; @__hip_cuid_233a34815e8141e0
	.section	.bss,"aw",@nobits
	.globl	__hip_cuid_233a34815e8141e0
__hip_cuid_233a34815e8141e0:
	.byte	0                               ; 0x0
	.size	__hip_cuid_233a34815e8141e0, 1

	.ident	"AMD clang version 22.0.0git (https://github.com/RadeonOpenCompute/llvm-project roc-7.2.4 26084 f58b06dce1f9c15707c5f808fd002e18c2accf7e)"
	.section	".note.GNU-stack","",@progbits
	.addrsig
	.addrsig_sym __hip_cuid_233a34815e8141e0
	.amdgpu_metadata
---
amdhsa.kernels:
  - .args:
      - .address_space:  global
        .offset:         0
        .size:           8
        .value_kind:     global_buffer
      - .address_space:  global
        .offset:         8
        .size:           8
        .value_kind:     global_buffer
      - .offset:         16
        .size:           8
        .value_kind:     by_value
      - .address_space:  global
        .offset:         24
        .size:           8
        .value_kind:     global_buffer
      - .offset:         32
        .size:           8
        .value_kind:     by_value
      - .address_space:  global
        .offset:         40
        .size:           8
        .value_kind:     global_buffer
      - .address_space:  global
        .offset:         48
        .size:           8
        .value_kind:     global_buffer
      - .address_space:  global
        .offset:         56
        .size:           8
        .value_kind:     global_buffer
      - .offset:         64
        .size:           8
        .value_kind:     by_value
      - .offset:         72
        .size:           4
        .value_kind:     hidden_block_count_x
      - .offset:         76
        .size:           4
        .value_kind:     hidden_block_count_y
      - .offset:         80
        .size:           4
        .value_kind:     hidden_block_count_z
      - .offset:         84
        .size:           2
        .value_kind:     hidden_group_size_x
      - .offset:         86
        .size:           2
        .value_kind:     hidden_group_size_y
      - .offset:         88
        .size:           2
        .value_kind:     hidden_group_size_z
      - .offset:         90
        .size:           2
        .value_kind:     hidden_remainder_x
      - .offset:         92
        .size:           2
        .value_kind:     hidden_remainder_y
      - .offset:         94
        .size:           2
        .value_kind:     hidden_remainder_z
      - .offset:         112
        .size:           8
        .value_kind:     hidden_global_offset_x
      - .offset:         120
        .size:           8
        .value_kind:     hidden_global_offset_y
      - .offset:         128
        .size:           8
        .value_kind:     hidden_global_offset_z
      - .offset:         136
        .size:           2
        .value_kind:     hidden_grid_dims
    .group_segment_fixed_size: 0
    .kernarg_segment_align: 8
    .kernarg_segment_size: 328
    .language:       OpenCL C
    .language_version:
      - 2
      - 0
    .max_flat_workgroup_size: 1024
    .name:           _Z11flip_kernelIfEvPKT_PS0_lPKllS5_S5_S5_l
    .private_segment_fixed_size: 0
    .sgpr_count:     44
    .sgpr_spill_count: 0
    .symbol:         _Z11flip_kernelIfEvPKT_PS0_lPKllS5_S5_S5_l.kd
    .uniform_work_group_size: 1
    .uses_dynamic_stack: false
    .vgpr_count:     18
    .vgpr_spill_count: 0
    .wavefront_size: 64
  - .args:
      - .address_space:  global
        .offset:         0
        .size:           8
        .value_kind:     global_buffer
      - .address_space:  global
        .offset:         8
        .size:           8
        .value_kind:     global_buffer
      - .offset:         16
        .size:           8
        .value_kind:     by_value
      - .address_space:  global
        .offset:         24
        .size:           8
        .value_kind:     global_buffer
      - .offset:         32
        .size:           8
        .value_kind:     by_value
      - .address_space:  global
        .offset:         40
        .size:           8
        .value_kind:     global_buffer
      - .address_space:  global
        .offset:         48
        .size:           8
        .value_kind:     global_buffer
      - .address_space:  global
        .offset:         56
        .size:           8
        .value_kind:     global_buffer
      - .offset:         64
        .size:           8
        .value_kind:     by_value
      - .offset:         72
        .size:           4
        .value_kind:     hidden_block_count_x
      - .offset:         76
        .size:           4
        .value_kind:     hidden_block_count_y
      - .offset:         80
        .size:           4
        .value_kind:     hidden_block_count_z
      - .offset:         84
        .size:           2
        .value_kind:     hidden_group_size_x
      - .offset:         86
        .size:           2
        .value_kind:     hidden_group_size_y
      - .offset:         88
        .size:           2
        .value_kind:     hidden_group_size_z
      - .offset:         90
        .size:           2
        .value_kind:     hidden_remainder_x
      - .offset:         92
        .size:           2
        .value_kind:     hidden_remainder_y
      - .offset:         94
        .size:           2
        .value_kind:     hidden_remainder_z
      - .offset:         112
        .size:           8
        .value_kind:     hidden_global_offset_x
      - .offset:         120
        .size:           8
        .value_kind:     hidden_global_offset_y
      - .offset:         128
        .size:           8
        .value_kind:     hidden_global_offset_z
      - .offset:         136
        .size:           2
        .value_kind:     hidden_grid_dims
    .group_segment_fixed_size: 0
    .kernarg_segment_align: 8
    .kernarg_segment_size: 328
    .language:       OpenCL C
    .language_version:
      - 2
      - 0
    .max_flat_workgroup_size: 1024
    .name:           _Z11flip_kernelIdEvPKT_PS0_lPKllS5_S5_S5_l
    .private_segment_fixed_size: 0
    .sgpr_count:     44
    .sgpr_spill_count: 0
    .symbol:         _Z11flip_kernelIdEvPKT_PS0_lPKllS5_S5_S5_l.kd
    .uniform_work_group_size: 1
    .uses_dynamic_stack: false
    .vgpr_count:     18
    .vgpr_spill_count: 0
    .wavefront_size: 64
amdhsa.target:   amdgcn-amd-amdhsa--gfx906
amdhsa.version:
  - 1
  - 2
...

	.end_amdgpu_metadata
